;; amdgpu-corpus repo=ROCm/rocFFT kind=compiled arch=gfx950 opt=O3
	.text
	.amdgcn_target "amdgcn-amd-amdhsa--gfx950"
	.amdhsa_code_object_version 6
	.protected	fft_rtc_back_len1170_factors_2_13_3_5_3_wgs_117_tpt_117_dp_ip_CI_unitstride_sbrr_dirReg ; -- Begin function fft_rtc_back_len1170_factors_2_13_3_5_3_wgs_117_tpt_117_dp_ip_CI_unitstride_sbrr_dirReg
	.globl	fft_rtc_back_len1170_factors_2_13_3_5_3_wgs_117_tpt_117_dp_ip_CI_unitstride_sbrr_dirReg
	.p2align	8
	.type	fft_rtc_back_len1170_factors_2_13_3_5_3_wgs_117_tpt_117_dp_ip_CI_unitstride_sbrr_dirReg,@function
fft_rtc_back_len1170_factors_2_13_3_5_3_wgs_117_tpt_117_dp_ip_CI_unitstride_sbrr_dirReg: ; @fft_rtc_back_len1170_factors_2_13_3_5_3_wgs_117_tpt_117_dp_ip_CI_unitstride_sbrr_dirReg
; %bb.0:
	s_load_dwordx2 s[8:9], s[0:1], 0x50
	s_load_dwordx4 s[4:7], s[0:1], 0x0
	s_load_dwordx2 s[10:11], s[0:1], 0x18
	v_mul_u32_u24_e32 v1, 0x231, v0
	v_add_u32_sdwa v6, s2, v1 dst_sel:DWORD dst_unused:UNUSED_PAD src0_sel:DWORD src1_sel:WORD_1
	v_mov_b32_e32 v4, 0
	s_waitcnt lgkmcnt(0)
	v_cmp_lt_u64_e64 s[2:3], s[6:7], 2
	v_mov_b32_e32 v7, v4
	s_and_b64 vcc, exec, s[2:3]
	v_mov_b64_e32 v[2:3], 0
	s_cbranch_vccnz .LBB0_8
; %bb.1:
	s_load_dwordx2 s[2:3], s[0:1], 0x10
	s_add_u32 s12, s10, 8
	s_addc_u32 s13, s11, 0
	s_mov_b64 s[14:15], 1
	v_mov_b64_e32 v[2:3], 0
	s_waitcnt lgkmcnt(0)
	s_add_u32 s16, s2, 8
	s_addc_u32 s17, s3, 0
.LBB0_2:                                ; =>This Inner Loop Header: Depth=1
	s_load_dwordx2 s[18:19], s[16:17], 0x0
                                        ; implicit-def: $vgpr8_vgpr9
	s_waitcnt lgkmcnt(0)
	v_or_b32_e32 v5, s19, v7
	v_cmp_ne_u64_e32 vcc, 0, v[4:5]
	s_and_saveexec_b64 s[2:3], vcc
	s_xor_b64 s[20:21], exec, s[2:3]
	s_cbranch_execz .LBB0_4
; %bb.3:                                ;   in Loop: Header=BB0_2 Depth=1
	v_cvt_f32_u32_e32 v1, s18
	v_cvt_f32_u32_e32 v5, s19
	s_sub_u32 s2, 0, s18
	s_subb_u32 s3, 0, s19
	v_fmac_f32_e32 v1, 0x4f800000, v5
	v_rcp_f32_e32 v1, v1
	s_nop 0
	v_mul_f32_e32 v1, 0x5f7ffffc, v1
	v_mul_f32_e32 v5, 0x2f800000, v1
	v_trunc_f32_e32 v5, v5
	v_fmac_f32_e32 v1, 0xcf800000, v5
	v_cvt_u32_f32_e32 v5, v5
	v_cvt_u32_f32_e32 v1, v1
	v_mul_lo_u32 v8, s2, v5
	v_mul_hi_u32 v10, s2, v1
	v_mul_lo_u32 v9, s3, v1
	v_add_u32_e32 v10, v10, v8
	v_mul_lo_u32 v12, s2, v1
	v_add_u32_e32 v13, v10, v9
	v_mul_hi_u32 v8, v1, v12
	v_mul_hi_u32 v11, v1, v13
	v_mul_lo_u32 v10, v1, v13
	v_mov_b32_e32 v9, v4
	v_lshl_add_u64 v[8:9], v[8:9], 0, v[10:11]
	v_mul_hi_u32 v11, v5, v12
	v_mul_lo_u32 v12, v5, v12
	v_add_co_u32_e32 v8, vcc, v8, v12
	v_mul_hi_u32 v10, v5, v13
	s_nop 0
	v_addc_co_u32_e32 v8, vcc, v9, v11, vcc
	v_mov_b32_e32 v9, v4
	s_nop 0
	v_addc_co_u32_e32 v11, vcc, 0, v10, vcc
	v_mul_lo_u32 v10, v5, v13
	v_lshl_add_u64 v[8:9], v[8:9], 0, v[10:11]
	v_add_co_u32_e32 v1, vcc, v1, v8
	v_mul_lo_u32 v10, s2, v1
	s_nop 0
	v_addc_co_u32_e32 v5, vcc, v5, v9, vcc
	v_mul_lo_u32 v8, s2, v5
	v_mul_hi_u32 v9, s2, v1
	v_add_u32_e32 v8, v9, v8
	v_mul_lo_u32 v9, s3, v1
	v_add_u32_e32 v12, v8, v9
	v_mul_hi_u32 v14, v5, v10
	v_mul_lo_u32 v15, v5, v10
	v_mul_hi_u32 v9, v1, v12
	v_mul_lo_u32 v8, v1, v12
	v_mul_hi_u32 v10, v1, v10
	v_mov_b32_e32 v11, v4
	v_lshl_add_u64 v[8:9], v[10:11], 0, v[8:9]
	v_add_co_u32_e32 v8, vcc, v8, v15
	v_mul_hi_u32 v13, v5, v12
	s_nop 0
	v_addc_co_u32_e32 v8, vcc, v9, v14, vcc
	v_mul_lo_u32 v10, v5, v12
	s_nop 0
	v_addc_co_u32_e32 v11, vcc, 0, v13, vcc
	v_mov_b32_e32 v9, v4
	v_lshl_add_u64 v[8:9], v[8:9], 0, v[10:11]
	v_add_co_u32_e32 v1, vcc, v1, v8
	v_mul_hi_u32 v10, v6, v1
	s_nop 0
	v_addc_co_u32_e32 v5, vcc, v5, v9, vcc
	v_mad_u64_u32 v[8:9], s[2:3], v6, v5, 0
	v_mov_b32_e32 v11, v4
	v_lshl_add_u64 v[8:9], v[10:11], 0, v[8:9]
	v_mad_u64_u32 v[12:13], s[2:3], v7, v1, 0
	v_add_co_u32_e32 v1, vcc, v8, v12
	v_mad_u64_u32 v[10:11], s[2:3], v7, v5, 0
	s_nop 0
	v_addc_co_u32_e32 v8, vcc, v9, v13, vcc
	v_mov_b32_e32 v9, v4
	s_nop 0
	v_addc_co_u32_e32 v11, vcc, 0, v11, vcc
	v_lshl_add_u64 v[8:9], v[8:9], 0, v[10:11]
	v_mul_lo_u32 v1, s19, v8
	v_mul_lo_u32 v5, s18, v9
	v_mad_u64_u32 v[10:11], s[2:3], s18, v8, 0
	v_add3_u32 v1, v11, v5, v1
	v_sub_u32_e32 v5, v7, v1
	v_mov_b32_e32 v11, s19
	v_sub_co_u32_e32 v14, vcc, v6, v10
	v_lshl_add_u64 v[12:13], v[8:9], 0, 1
	s_nop 0
	v_subb_co_u32_e64 v5, s[2:3], v5, v11, vcc
	v_subrev_co_u32_e64 v10, s[2:3], s18, v14
	v_subb_co_u32_e32 v1, vcc, v7, v1, vcc
	s_nop 0
	v_subbrev_co_u32_e64 v5, s[2:3], 0, v5, s[2:3]
	v_cmp_le_u32_e64 s[2:3], s19, v5
	v_cmp_le_u32_e32 vcc, s19, v1
	s_nop 0
	v_cndmask_b32_e64 v11, 0, -1, s[2:3]
	v_cmp_le_u32_e64 s[2:3], s18, v10
	s_nop 1
	v_cndmask_b32_e64 v10, 0, -1, s[2:3]
	v_cmp_eq_u32_e64 s[2:3], s19, v5
	s_nop 1
	v_cndmask_b32_e64 v5, v11, v10, s[2:3]
	v_lshl_add_u64 v[10:11], v[8:9], 0, 2
	v_cmp_ne_u32_e64 s[2:3], 0, v5
	s_nop 1
	v_cndmask_b32_e64 v5, v13, v11, s[2:3]
	v_cndmask_b32_e64 v11, 0, -1, vcc
	v_cmp_le_u32_e32 vcc, s18, v14
	s_nop 1
	v_cndmask_b32_e64 v13, 0, -1, vcc
	v_cmp_eq_u32_e32 vcc, s19, v1
	s_nop 1
	v_cndmask_b32_e32 v1, v11, v13, vcc
	v_cmp_ne_u32_e32 vcc, 0, v1
	v_cndmask_b32_e64 v1, v12, v10, s[2:3]
	s_nop 0
	v_cndmask_b32_e32 v9, v9, v5, vcc
	v_cndmask_b32_e32 v8, v8, v1, vcc
.LBB0_4:                                ;   in Loop: Header=BB0_2 Depth=1
	s_andn2_saveexec_b64 s[2:3], s[20:21]
	s_cbranch_execz .LBB0_6
; %bb.5:                                ;   in Loop: Header=BB0_2 Depth=1
	v_cvt_f32_u32_e32 v1, s18
	s_sub_i32 s20, 0, s18
	v_rcp_iflag_f32_e32 v1, v1
	s_nop 0
	v_mul_f32_e32 v1, 0x4f7ffffe, v1
	v_cvt_u32_f32_e32 v1, v1
	v_mul_lo_u32 v5, s20, v1
	v_mul_hi_u32 v5, v1, v5
	v_add_u32_e32 v1, v1, v5
	v_mul_hi_u32 v1, v6, v1
	v_mul_lo_u32 v5, v1, s18
	v_sub_u32_e32 v5, v6, v5
	v_add_u32_e32 v8, 1, v1
	v_subrev_u32_e32 v9, s18, v5
	v_cmp_le_u32_e32 vcc, s18, v5
	s_nop 1
	v_cndmask_b32_e32 v5, v5, v9, vcc
	v_cndmask_b32_e32 v1, v1, v8, vcc
	v_add_u32_e32 v8, 1, v1
	v_cmp_le_u32_e32 vcc, s18, v5
	v_mov_b32_e32 v9, v4
	s_nop 0
	v_cndmask_b32_e32 v8, v1, v8, vcc
.LBB0_6:                                ;   in Loop: Header=BB0_2 Depth=1
	s_or_b64 exec, exec, s[2:3]
	v_mad_u64_u32 v[10:11], s[2:3], v8, s18, 0
	s_load_dwordx2 s[2:3], s[12:13], 0x0
	v_mul_lo_u32 v1, v9, s18
	v_mul_lo_u32 v5, v8, s19
	v_add3_u32 v1, v11, v5, v1
	v_sub_co_u32_e32 v5, vcc, v6, v10
	s_add_u32 s14, s14, 1
	s_nop 0
	v_subb_co_u32_e32 v1, vcc, v7, v1, vcc
	s_addc_u32 s15, s15, 0
	s_waitcnt lgkmcnt(0)
	v_mul_lo_u32 v1, s2, v1
	v_mul_lo_u32 v6, s3, v5
	v_mad_u64_u32 v[2:3], s[2:3], s2, v5, v[2:3]
	s_add_u32 s12, s12, 8
	v_add3_u32 v3, v6, v3, v1
	s_addc_u32 s13, s13, 0
	v_mov_b64_e32 v[6:7], s[6:7]
	s_add_u32 s16, s16, 8
	v_cmp_ge_u64_e32 vcc, s[14:15], v[6:7]
	s_addc_u32 s17, s17, 0
	s_cbranch_vccnz .LBB0_9
; %bb.7:                                ;   in Loop: Header=BB0_2 Depth=1
	v_mov_b64_e32 v[6:7], v[8:9]
	s_branch .LBB0_2
.LBB0_8:
	v_mov_b64_e32 v[8:9], v[6:7]
.LBB0_9:
	s_lshl_b64 s[2:3], s[6:7], 3
	s_add_u32 s2, s10, s2
	s_addc_u32 s3, s11, s3
	s_load_dwordx2 s[6:7], s[2:3], 0x0
	s_load_dwordx2 s[10:11], s[0:1], 0x20
	s_mov_b32 s2, 0x2302303
                                        ; implicit-def: $vgpr38_vgpr39
                                        ; implicit-def: $vgpr34_vgpr35
                                        ; implicit-def: $vgpr30_vgpr31
                                        ; implicit-def: $vgpr26_vgpr27
                                        ; implicit-def: $vgpr22_vgpr23
                                        ; implicit-def: $vgpr18_vgpr19
                                        ; implicit-def: $vgpr14_vgpr15
                                        ; implicit-def: $vgpr10_vgpr11
                                        ; implicit-def: $vgpr6_vgpr7
	s_waitcnt lgkmcnt(0)
	v_mul_lo_u32 v1, s6, v9
	v_mul_lo_u32 v4, s7, v8
	v_mad_u64_u32 v[2:3], s[0:1], s6, v8, v[2:3]
	v_add3_u32 v3, v4, v3, v1
	v_mul_hi_u32 v1, v0, s2
	v_mul_u32_u24_e32 v1, 0x75, v1
	v_cmp_gt_u64_e64 s[0:1], s[10:11], v[8:9]
	v_sub_u32_e32 v52, v0, v1
	v_lshl_add_u64 v[54:55], v[2:3], 4, s[8:9]
                                        ; implicit-def: $vgpr2_vgpr3
	s_and_saveexec_b64 s[2:3], s[0:1]
	s_cbranch_execz .LBB0_11
; %bb.10:
	v_mov_b32_e32 v53, 0
	v_lshl_add_u64 v[32:33], v[52:53], 4, v[54:55]
	v_add_co_u32_e32 v24, vcc, 0x2000, v32
	s_movk_i32 s6, 0x3000
	s_nop 0
	v_addc_co_u32_e32 v25, vcc, 0, v33, vcc
	v_add_co_u32_e32 v34, vcc, s6, v32
	s_movk_i32 s6, 0x1000
	s_nop 0
	v_addc_co_u32_e32 v35, vcc, 0, v33, vcc
	v_add_co_u32_e32 v40, vcc, s6, v32
	global_load_dwordx4 v[0:3], v[32:33], off
	global_load_dwordx4 v[8:11], v[32:33], off offset:1872
	global_load_dwordx4 v[4:7], v[24:25], off offset:1168
	;; [unrolled: 1-line block ×3, first 2 shown]
	v_addc_co_u32_e32 v41, vcc, 0, v33, vcc
	v_add_co_u32_e32 v42, vcc, 0x4000, v32
	global_load_dwordx4 v[12:15], v[24:25], off offset:3040
	global_load_dwordx4 v[20:23], v[34:35], off offset:816
	s_nop 0
	global_load_dwordx4 v[24:27], v[40:41], off offset:1520
	global_load_dwordx4 v[28:31], v[34:35], off offset:2688
	v_addc_co_u32_e32 v43, vcc, 0, v33, vcc
	global_load_dwordx4 v[32:35], v[40:41], off offset:3392
	global_load_dwordx4 v[36:39], v[42:43], off offset:464
.LBB0_11:
	s_or_b64 exec, exec, s[2:3]
	s_waitcnt vmcnt(7)
	v_add_f64 v[4:5], v[0:1], -v[4:5]
	v_add_f64 v[6:7], v[2:3], -v[6:7]
	s_waitcnt vmcnt(5)
	v_add_f64 v[12:13], v[8:9], -v[12:13]
	v_add_f64 v[14:15], v[10:11], -v[14:15]
	v_add_u32_e32 v53, 0x75, v52
	v_fma_f64 v[0:1], v[0:1], 2.0, -v[4:5]
	v_fma_f64 v[2:3], v[2:3], 2.0, -v[6:7]
	;; [unrolled: 1-line block ×4, first 2 shown]
	s_waitcnt vmcnt(4)
	v_add_f64 v[20:21], v[16:17], -v[20:21]
	v_add_f64 v[22:23], v[18:19], -v[22:23]
	v_lshl_add_u32 v40, v52, 5, 0
	v_lshl_add_u32 v41, v53, 5, 0
	v_add_u32_e32 v221, 0xea, v52
	v_fma_f64 v[16:17], v[16:17], 2.0, -v[20:21]
	v_fma_f64 v[18:19], v[18:19], 2.0, -v[22:23]
	s_waitcnt vmcnt(2)
	v_add_f64 v[28:29], v[24:25], -v[28:29]
	v_add_f64 v[30:31], v[26:27], -v[30:31]
	s_waitcnt vmcnt(0)
	v_add_f64 v[36:37], v[32:33], -v[36:37]
	v_add_f64 v[38:39], v[34:35], -v[38:39]
	ds_write_b128 v40, v[0:3]
	ds_write_b128 v40, v[4:7] offset:16
	ds_write_b128 v41, v[8:11]
	ds_write_b128 v41, v[12:15] offset:16
	v_lshl_add_u32 v41, v221, 5, 0
	v_add_u32_e32 v220, 0x15f, v52
	s_movk_i32 s2, 0x5a
	v_fma_f64 v[24:25], v[24:25], 2.0, -v[28:29]
	v_fma_f64 v[26:27], v[26:27], 2.0, -v[30:31]
	;; [unrolled: 1-line block ×4, first 2 shown]
	ds_write_b128 v41, v[16:19]
	ds_write_b128 v41, v[20:23] offset:16
	v_lshl_add_u32 v41, v220, 5, 0
	v_cmp_gt_u32_e32 vcc, s2, v52
	ds_write_b128 v41, v[24:27]
	ds_write_b128 v41, v[28:31] offset:16
	ds_write_b128 v40, v[32:35] offset:14976
	;; [unrolled: 1-line block ×3, first 2 shown]
	s_waitcnt lgkmcnt(0)
	s_barrier
	s_waitcnt lgkmcnt(0)
                                        ; implicit-def: $vgpr50_vgpr51
                                        ; implicit-def: $vgpr46_vgpr47
                                        ; implicit-def: $vgpr42_vgpr43
	s_and_saveexec_b64 s[2:3], vcc
	s_cbranch_execz .LBB0_13
; %bb.12:
	v_lshlrev_b32_e32 v0, 4, v52
	v_sub_u32_e32 v48, v40, v0
	ds_read_b128 v[0:3], v48
	ds_read_b128 v[4:7], v48 offset:1440
	ds_read_b128 v[8:11], v48 offset:2880
	;; [unrolled: 1-line block ×12, first 2 shown]
.LBB0_13:
	s_or_b64 exec, exec, s[2:3]
	v_and_b32_e32 v222, 1, v52
	v_mul_u32_u24_e32 v56, 12, v222
	v_lshlrev_b32_e32 v56, 4, v56
	global_load_dwordx4 v[80:83], v56, s[4:5]
	global_load_dwordx4 v[84:87], v56, s[4:5] offset:16
	global_load_dwordx4 v[88:91], v56, s[4:5] offset:32
	;; [unrolled: 1-line block ×11, first 2 shown]
	s_mov_b32 s2, 0x1ea71119
	s_mov_b32 s6, 0x42a4c3d2
	;; [unrolled: 1-line block ×34, first 2 shown]
	s_waitcnt lgkmcnt(0)
	s_barrier
	s_waitcnt vmcnt(11)
	v_mul_f64 v[56:57], v[6:7], v[82:83]
	v_mul_f64 v[82:83], v[4:5], v[82:83]
	s_waitcnt vmcnt(10)
	v_mul_f64 v[58:59], v[10:11], v[86:87]
	v_mul_f64 v[86:87], v[8:9], v[86:87]
	v_fmac_f64_e32 v[56:57], v[4:5], v[80:81]
	v_fma_f64 v[80:81], v[6:7], v[80:81], -v[82:83]
	s_waitcnt vmcnt(9)
	v_mul_f64 v[60:61], v[14:15], v[90:91]
	s_waitcnt vmcnt(4)
	v_mul_f64 v[70:71], v[34:35], v[110:111]
	v_mul_f64 v[110:111], v[32:33], v[110:111]
	s_waitcnt vmcnt(2)
	v_mul_f64 v[74:75], v[42:43], v[118:119]
	;; [unrolled: 3-line block ×3, first 2 shown]
	v_mul_f64 v[126:127], v[48:49], v[126:127]
	v_mul_f64 v[114:115], v[36:37], v[114:115]
	;; [unrolled: 1-line block ×5, first 2 shown]
	v_fmac_f64_e32 v[74:75], v[40:41], v[116:117]
	v_fma_f64 v[40:41], v[50:51], v[124:125], -v[126:127]
	v_mul_f64 v[90:91], v[12:13], v[90:91]
	v_mul_f64 v[62:63], v[18:19], v[94:95]
	;; [unrolled: 1-line block ×7, first 2 shown]
	v_fma_f64 v[82:83], v[10:11], v[84:85], -v[86:87]
	v_fmac_f64_e32 v[70:71], v[32:33], v[108:109]
	v_fma_f64 v[32:33], v[34:35], v[108:109], -v[110:111]
	v_fma_f64 v[34:35], v[38:39], v[112:113], -v[114:115]
	;; [unrolled: 1-line block ×3, first 2 shown]
	v_fmac_f64_e32 v[78:79], v[48:49], v[124:125]
	v_add_f64 v[46:47], v[80:81], -v[40:41]
	v_add_f64 v[48:49], v[80:81], v[40:41]
	v_mul_f64 v[66:67], v[26:27], v[102:103]
	v_mul_f64 v[102:103], v[24:25], v[102:103]
	v_fmac_f64_e32 v[58:59], v[8:9], v[84:85]
	v_fmac_f64_e32 v[60:61], v[12:13], v[88:89]
	v_fma_f64 v[84:85], v[14:15], v[88:89], -v[90:91]
	v_fmac_f64_e32 v[62:63], v[16:17], v[92:93]
	v_fma_f64 v[86:87], v[18:19], v[92:93], -v[94:95]
	v_fma_f64 v[88:89], v[22:23], v[96:97], -v[98:99]
	v_fmac_f64_e32 v[68:69], v[28:29], v[104:105]
	v_fma_f64 v[92:93], v[30:31], v[104:105], -v[106:107]
	v_fmac_f64_e32 v[72:73], v[36:37], v[112:113]
	;; [unrolled: 2-line block ×3, first 2 shown]
	v_add_f64 v[42:43], v[56:57], v[78:79]
	v_add_f64 v[94:95], v[82:83], -v[38:39]
	v_add_f64 v[98:99], v[56:57], -v[78:79]
	v_add_f64 v[50:51], v[82:83], v[38:39]
	v_mul_f64 v[104:105], v[46:47], s[6:7]
	v_mul_f64 v[112:113], v[48:49], s[2:3]
	v_fmac_f64_e32 v[66:67], v[24:25], v[100:101]
	v_fma_f64 v[90:91], v[26:27], v[100:101], -v[102:103]
	v_add_f64 v[44:45], v[58:59], v[76:77]
	v_add_f64 v[100:101], v[58:59], -v[76:77]
	v_mul_f64 v[106:107], v[94:95], s[10:11]
	v_mul_f64 v[114:115], v[50:51], s[8:9]
	v_fma_f64 v[4:5], v[42:43], s[2:3], -v[104:105]
	v_fma_f64 v[8:9], s[6:7], v[98:99], v[112:113]
	v_add_f64 v[108:109], v[84:85], -v[36:37]
	v_fmac_f64_e32 v[64:65], v[20:21], v[96:97]
	v_fma_f64 v[6:7], v[44:45], s[8:9], -v[106:107]
	v_fma_f64 v[10:11], s[10:11], v[100:101], v[114:115]
	v_add_f64 v[4:5], v[0:1], v[4:5]
	v_add_f64 v[8:9], v[2:3], v[8:9]
	;; [unrolled: 1-line block ×3, first 2 shown]
	v_mul_f64 v[122:123], v[108:109], s[14:15]
	v_add_f64 v[102:103], v[84:85], v[36:37]
	v_add_f64 v[4:5], v[6:7], v[4:5]
	;; [unrolled: 1-line block ×3, first 2 shown]
	v_fma_f64 v[8:9], v[96:97], s[12:13], -v[122:123]
	v_add_f64 v[118:119], v[60:61], -v[74:75]
	v_mul_f64 v[126:127], v[102:103], s[12:13]
	v_add_f64 v[124:125], v[86:87], -v[34:35]
	v_add_f64 v[4:5], v[8:9], v[4:5]
	v_fma_f64 v[8:9], s[14:15], v[118:119], v[126:127]
	v_add_f64 v[110:111], v[62:63], v[72:73]
	v_mul_f64 v[136:137], v[124:125], s[30:31]
	v_add_f64 v[116:117], v[86:87], v[34:35]
	v_add_f64 v[6:7], v[8:9], v[6:7]
	v_fma_f64 v[8:9], v[110:111], s[16:17], -v[136:137]
	v_add_f64 v[130:131], v[62:63], -v[72:73]
	v_mul_f64 v[140:141], v[116:117], s[16:17]
	v_add_f64 v[134:135], v[88:89], -v[32:33]
	v_add_f64 v[4:5], v[8:9], v[4:5]
	v_fma_f64 v[8:9], s[30:31], v[130:131], v[140:141]
	v_add_f64 v[120:121], v[64:65], v[70:71]
	v_mul_f64 v[146:147], v[134:135], s[34:35]
	v_add_f64 v[128:129], v[88:89], v[32:33]
	v_add_f64 v[6:7], v[8:9], v[6:7]
	;; [unrolled: 10-line block ×3, first 2 shown]
	v_fma_f64 v[8:9], v[132:133], s[22:23], -v[152:153]
	v_add_f64 v[150:151], v[66:67], -v[68:69]
	v_mul_f64 v[154:155], v[138:139], s[22:23]
	v_add_f64 v[4:5], v[8:9], v[4:5]
	v_fma_f64 v[8:9], s[26:27], v[150:151], v[154:155]
	v_mul_f64 v[156:157], v[46:47], s[24:25]
	v_add_f64 v[6:7], v[8:9], v[6:7]
	v_fma_f64 v[8:9], v[42:43], s[18:19], -v[156:157]
	v_mul_f64 v[158:159], v[94:95], s[14:15]
	v_add_f64 v[8:9], v[0:1], v[8:9]
	v_fma_f64 v[10:11], v[44:45], s[12:13], -v[158:159]
	v_mul_f64 v[162:163], v[48:49], s[18:19]
	v_add_f64 v[8:9], v[10:11], v[8:9]
	v_fma_f64 v[10:11], s[24:25], v[98:99], v[162:163]
	v_mul_f64 v[166:167], v[50:51], s[12:13]
	v_add_f64 v[10:11], v[2:3], v[10:11]
	v_fma_f64 v[12:13], s[14:15], v[100:101], v[166:167]
	v_mul_f64 v[160:161], v[108:109], s[36:37]
	v_add_f64 v[10:11], v[12:13], v[10:11]
	v_fma_f64 v[12:13], v[96:97], s[8:9], -v[160:161]
	v_mul_f64 v[170:171], v[102:103], s[8:9]
	v_add_f64 v[8:9], v[12:13], v[8:9]
	v_fma_f64 v[12:13], s[36:37], v[118:119], v[170:171]
	v_mul_f64 v[164:165], v[124:125], s[26:27]
	v_add_f64 v[10:11], v[12:13], v[10:11]
	v_fma_f64 v[12:13], v[110:111], s[22:23], -v[164:165]
	;; [unrolled: 6-line block ×5, first 2 shown]
	v_mul_f64 v[186:187], v[94:95], s[30:31]
	v_add_f64 v[8:9], v[0:1], v[8:9]
	v_fma_f64 v[10:11], v[44:45], s[16:17], -v[186:187]
	v_mul_f64 v[202:203], v[48:49], s[8:9]
	v_add_f64 v[8:9], v[10:11], v[8:9]
	v_fma_f64 v[10:11], s[10:11], v[98:99], v[202:203]
	v_mul_f64 v[206:207], v[50:51], s[16:17]
	v_add_f64 v[10:11], v[2:3], v[10:11]
	v_fma_f64 v[16:17], s[30:31], v[100:101], v[206:207]
	v_mul_f64 v[192:193], v[108:109], s[26:27]
	v_add_f64 v[10:11], v[16:17], v[10:11]
	v_fma_f64 v[16:17], v[96:97], s[22:23], -v[192:193]
	v_mul_f64 v[210:211], v[102:103], s[22:23]
	v_add_f64 v[8:9], v[16:17], v[8:9]
	v_fma_f64 v[16:17], s[26:27], v[118:119], v[210:211]
	v_mul_f64 v[196:197], v[124:125], s[24:25]
	v_add_f64 v[10:11], v[16:17], v[10:11]
	v_fma_f64 v[16:17], v[110:111], s[18:19], -v[196:197]
	;; [unrolled: 6-line block ×4, first 2 shown]
	v_mul_f64 v[218:219], v[138:139], s[2:3]
	v_add_f64 v[8:9], v[16:17], v[8:9]
	v_fma_f64 v[16:17], s[40:41], v[150:151], v[218:219]
	v_add_f64 v[10:11], v[16:17], v[10:11]
	s_and_saveexec_b64 s[20:21], vcc
	s_cbranch_execz .LBB0_15
; %bb.14:
	v_mul_f64 v[230:231], v[98:99], s[14:15]
	v_mul_f64 v[226:227], v[100:101], s[26:27]
	v_fma_f64 v[232:233], s[12:13], v[48:49], v[230:231]
	v_mul_f64 v[244:245], v[46:47], s[14:15]
	v_mul_f64 v[28:29], v[118:119], s[28:29]
	v_fma_f64 v[228:229], s[22:23], v[50:51], v[226:227]
	v_add_f64 v[232:233], v[2:3], v[232:233]
	v_mul_f64 v[240:241], v[94:95], s[26:27]
	v_fma_f64 v[246:247], v[42:43], s[12:13], -v[244:245]
	v_mul_f64 v[24:25], v[130:131], s[40:41]
	v_fma_f64 v[30:31], s[16:17], v[102:103], v[28:29]
	v_add_f64 v[228:229], v[228:229], v[232:233]
	v_mul_f64 v[236:237], v[108:109], s[28:29]
	v_fma_f64 v[242:243], v[44:45], s[22:23], -v[240:241]
	v_add_f64 v[246:247], v[0:1], v[246:247]
	v_mul_f64 v[22:23], v[142:143], s[10:11]
	v_fma_f64 v[26:27], s[2:3], v[116:117], v[24:25]
	v_add_f64 v[30:31], v[30:31], v[228:229]
	v_mul_f64 v[232:233], v[124:125], s[40:41]
	v_fma_f64 v[238:239], v[96:97], s[16:17], -v[236:237]
	v_add_f64 v[242:243], v[242:243], v[246:247]
	;; [unrolled: 6-line block ×3, first 2 shown]
	v_fma_f64 v[16:17], s[18:19], v[138:139], v[20:21]
	v_add_f64 v[18:19], v[18:19], v[26:27]
	v_mul_f64 v[26:27], v[144:145], s[34:35]
	v_fma_f64 v[228:229], v[120:121], s[8:9], -v[30:31]
	v_add_f64 v[234:235], v[234:235], v[238:239]
	v_add_f64 v[18:19], v[16:17], v[18:19]
	v_fma_f64 v[16:17], v[132:133], s[18:19], -v[26:27]
	v_add_f64 v[228:229], v[228:229], v[234:235]
	v_add_f64 v[16:17], v[16:17], v[228:229]
	v_fma_f64 v[228:229], v[48:49], s[12:13], -v[230:231]
	v_fma_f64 v[226:227], v[50:51], s[22:23], -v[226:227]
	v_add_f64 v[228:229], v[2:3], v[228:229]
	v_fma_f64 v[28:29], v[102:103], s[16:17], -v[28:29]
	v_add_f64 v[226:227], v[226:227], v[228:229]
	v_fma_f64 v[24:25], v[116:117], s[2:3], -v[24:25]
	v_add_f64 v[28:29], v[28:29], v[226:227]
	v_fma_f64 v[22:23], v[128:129], s[8:9], -v[22:23]
	v_add_f64 v[24:25], v[24:25], v[28:29]
	v_fma_f64 v[20:21], v[138:139], s[18:19], -v[20:21]
	v_add_f64 v[22:23], v[22:23], v[24:25]
	v_fmac_f64_e32 v[244:245], s[12:13], v[42:43]
	v_add_f64 v[22:23], v[20:21], v[22:23]
	v_fmac_f64_e32 v[240:241], s[22:23], v[44:45]
	v_add_f64 v[20:21], v[0:1], v[244:245]
	v_mul_f64 v[238:239], v[98:99], s[28:29]
	v_fmac_f64_e32 v[236:237], s[16:17], v[96:97]
	v_add_f64 v[20:21], v[240:241], v[20:21]
	v_mul_f64 v[234:235], v[100:101], s[34:35]
	v_fma_f64 v[240:241], s[16:17], v[48:49], v[238:239]
	v_fmac_f64_e32 v[232:233], s[2:3], v[110:111]
	v_add_f64 v[20:21], v[236:237], v[20:21]
	v_mul_f64 v[230:231], v[118:119], s[6:7]
	v_fma_f64 v[236:237], s[18:19], v[50:51], v[234:235]
	v_add_f64 v[240:241], v[2:3], v[240:241]
	v_fmac_f64_e32 v[30:31], s[8:9], v[120:121]
	v_add_f64 v[20:21], v[232:233], v[20:21]
	v_mul_f64 v[226:227], v[130:131], s[38:39]
	v_fma_f64 v[232:233], s[2:3], v[102:103], v[230:231]
	v_add_f64 v[236:237], v[236:237], v[240:241]
	;; [unrolled: 5-line block ×3, first 2 shown]
	v_add_f64 v[20:21], v[26:27], v[20:21]
	v_mul_f64 v[28:29], v[150:151], s[10:11]
	v_fma_f64 v[26:27], s[22:23], v[128:129], v[30:31]
	v_add_f64 v[228:229], v[228:229], v[232:233]
	v_mul_f64 v[244:245], v[46:47], s[28:29]
	v_fma_f64 v[24:25], s[8:9], v[138:139], v[28:29]
	v_add_f64 v[26:27], v[26:27], v[228:229]
	v_mul_f64 v[242:243], v[94:95], s[34:35]
	v_fma_f64 v[246:247], v[42:43], s[16:17], -v[244:245]
	v_fma_f64 v[238:239], v[48:49], s[16:17], -v[238:239]
	v_fmac_f64_e32 v[244:245], s[16:17], v[42:43]
	v_add_f64 v[26:27], v[24:25], v[26:27]
	v_mul_f64 v[240:241], v[108:109], s[6:7]
	v_fma_f64 v[24:25], v[44:45], s[18:19], -v[242:243]
	v_add_f64 v[246:247], v[0:1], v[246:247]
	v_fma_f64 v[234:235], v[50:51], s[18:19], -v[234:235]
	v_add_f64 v[238:239], v[2:3], v[238:239]
	v_fmac_f64_e32 v[242:243], s[18:19], v[44:45]
	v_add_f64 v[244:245], v[0:1], v[244:245]
	v_mul_f64 v[236:237], v[124:125], s[38:39]
	v_add_f64 v[24:25], v[24:25], v[246:247]
	v_fma_f64 v[246:247], v[96:97], s[2:3], -v[240:241]
	v_add_f64 v[234:235], v[234:235], v[238:239]
	v_fma_f64 v[230:231], v[102:103], s[2:3], -v[230:231]
	v_add_f64 v[242:243], v[242:243], v[244:245]
	v_fmac_f64_e32 v[240:241], s[2:3], v[96:97]
	v_mul_f64 v[232:233], v[134:135], s[26:27]
	v_add_f64 v[24:25], v[246:247], v[24:25]
	v_fma_f64 v[246:247], v[110:111], s[12:13], -v[236:237]
	v_add_f64 v[230:231], v[230:231], v[234:235]
	v_fma_f64 v[226:227], v[116:117], s[12:13], -v[226:227]
	v_add_f64 v[240:241], v[240:241], v[242:243]
	v_fmac_f64_e32 v[236:237], s[12:13], v[110:111]
	v_mul_f64 v[188:189], v[98:99], s[6:7]
	v_mul_f64 v[228:229], v[144:145], s[10:11]
	v_add_f64 v[24:25], v[246:247], v[24:25]
	v_fma_f64 v[246:247], v[120:121], s[22:23], -v[232:233]
	v_add_f64 v[226:227], v[226:227], v[230:231]
	v_fma_f64 v[30:31], v[128:129], s[22:23], -v[30:31]
	v_add_f64 v[236:237], v[236:237], v[240:241]
	v_fmac_f64_e32 v[232:233], s[22:23], v[120:121]
	v_mul_f64 v[224:225], v[98:99], s[10:11]
	v_mul_f64 v[190:191], v[100:101], s[10:11]
	v_add_f64 v[24:25], v[246:247], v[24:25]
	v_fma_f64 v[246:247], v[132:133], s[8:9], -v[228:229]
	v_add_f64 v[30:31], v[30:31], v[226:227]
	v_add_f64 v[232:233], v[232:233], v[236:237]
	v_fma_f64 v[28:29], v[138:139], s[8:9], -v[28:29]
	v_fmac_f64_e32 v[228:229], s[8:9], v[132:133]
	v_add_f64 v[112:113], v[112:113], -v[188:189]
	v_mul_f64 v[238:239], v[100:101], s[30:31]
	v_mul_f64 v[230:231], v[118:119], s[14:15]
	v_add_f64 v[30:31], v[28:29], v[30:31]
	v_add_f64 v[28:29], v[228:229], v[232:233]
	v_mul_f64 v[232:233], v[150:151], s[40:41]
	v_add_f64 v[202:203], v[202:203], -v[224:225]
	v_add_f64 v[114:115], v[114:115], -v[190:191]
	v_add_f64 v[112:113], v[2:3], v[112:113]
	v_mul_f64 v[180:181], v[42:43], s[2:3]
	v_mul_f64 v[240:241], v[118:119], s[26:27]
	;; [unrolled: 1-line block ×3, first 2 shown]
	v_add_f64 v[218:219], v[218:219], -v[232:233]
	v_mul_f64 v[232:233], v[142:143], s[38:39]
	v_add_f64 v[206:207], v[206:207], -v[238:239]
	v_add_f64 v[202:203], v[2:3], v[202:203]
	v_add_f64 v[126:127], v[126:127], -v[230:231]
	v_add_f64 v[112:113], v[114:115], v[112:113]
	v_mul_f64 v[184:185], v[44:45], s[8:9]
	v_add_f64 v[216:217], v[216:217], -v[232:233]
	v_mul_f64 v[232:233], v[130:131], s[24:25]
	v_add_f64 v[210:211], v[210:211], -v[240:241]
	v_mul_f64 v[238:239], v[110:111], s[18:19]
	v_add_f64 v[202:203], v[206:207], v[202:203]
	v_mul_f64 v[206:207], v[142:143], s[34:35]
	v_add_f64 v[140:141], v[140:141], -v[228:229]
	v_add_f64 v[112:113], v[126:127], v[112:113]
	v_add_f64 v[104:105], v[180:181], v[104:105]
	v_mul_f64 v[234:235], v[96:97], s[12:13]
	v_add_f64 v[214:215], v[214:215], -v[232:233]
	v_mul_f64 v[240:241], v[130:131], s[26:27]
	v_mul_f64 v[224:225], v[120:121], s[18:19]
	v_add_f64 v[202:203], v[210:211], v[202:203]
	v_add_f64 v[196:197], v[238:239], v[196:197]
	v_mul_f64 v[238:239], v[150:151], s[26:27]
	v_add_f64 v[148:149], v[148:149], -v[206:207]
	v_add_f64 v[112:113], v[140:141], v[112:113]
	v_add_f64 v[106:107], v[184:185], v[106:107]
	v_add_f64 v[104:105], v[0:1], v[104:105]
	s_mov_b32 s27, 0xbfddbe06
	v_mul_f64 v[194:195], v[42:43], s[18:19]
	v_mul_f64 v[204:205], v[98:99], s[24:25]
	;; [unrolled: 1-line block ×3, first 2 shown]
	v_add_f64 v[202:203], v[214:215], v[202:203]
	v_add_f64 v[112:113], v[148:149], v[112:113]
	;; [unrolled: 1-line block ×5, first 2 shown]
	v_mul_f64 v[146:147], v[98:99], s[26:27]
	v_mul_f64 v[148:149], v[46:47], s[26:27]
	v_mul_f64 v[236:237], v[110:111], s[16:17]
	v_mul_f64 v[214:215], v[142:143], s[6:7]
	v_add_f64 v[202:203], v[216:217], v[202:203]
	v_mul_f64 v[216:217], v[132:133], s[2:3]
	v_add_f64 v[182:183], v[212:213], v[182:183]
	v_add_f64 v[162:163], v[162:163], -v[204:205]
	v_add_f64 v[156:157], v[194:195], v[156:157]
	v_add_f64 v[104:105], v[122:123], v[104:105]
	v_mul_f64 v[122:123], v[142:143], s[28:29]
	v_mul_f64 v[142:143], v[100:101], s[6:7]
	v_fma_f64 v[98:99], s[22:23], v[48:49], v[146:147]
	v_fma_f64 v[46:47], v[42:43], s[22:23], -v[148:149]
	v_fma_f64 v[48:49], v[48:49], s[22:23], -v[146:147]
	v_fmac_f64_e32 v[148:149], s[22:23], v[42:43]
	v_add_f64 v[24:25], v[246:247], v[24:25]
	v_mul_f64 v[246:247], v[100:101], s[14:15]
	v_mul_f64 v[244:245], v[118:119], s[36:37]
	v_add_f64 v[208:209], v[216:217], v[208:209]
	v_mul_f64 v[216:217], v[120:121], s[12:13]
	v_add_f64 v[182:183], v[0:1], v[182:183]
	v_add_f64 v[162:163], v[2:3], v[162:163]
	;; [unrolled: 1-line block ×4, first 2 shown]
	v_mul_f64 v[118:119], v[118:119], s[24:25]
	v_fma_f64 v[100:101], s[2:3], v[50:51], v[142:143]
	v_add_f64 v[98:99], v[2:3], v[98:99]
	v_add_f64 v[46:47], v[0:1], v[46:47]
	;; [unrolled: 1-line block ×7, first 2 shown]
	v_mul_f64 v[216:217], v[132:133], s[22:23]
	v_add_f64 v[154:155], v[154:155], -v[238:239]
	v_add_f64 v[104:105], v[136:137], v[104:105]
	v_mul_f64 v[130:131], v[130:131], s[10:11]
	v_fma_f64 v[140:141], s[18:19], v[102:103], v[118:119]
	v_add_f64 v[98:99], v[100:101], v[98:99]
	v_add_f64 v[2:3], v[2:3], v[82:83]
	v_add_f64 v[0:1], v[0:1], v[58:59]
	v_add_f64 v[114:115], v[154:155], v[112:113]
	v_add_f64 v[112:113], v[216:217], v[152:153]
	v_add_f64 v[104:105], v[126:127], v[104:105]
	v_fma_f64 v[136:137], s[8:9], v[116:117], v[130:131]
	v_add_f64 v[98:99], v[140:141], v[98:99]
	v_add_f64 v[2:3], v[2:3], v[84:85]
	;; [unrolled: 1-line block ×4, first 2 shown]
	v_mul_f64 v[104:105], v[150:151], s[14:15]
	v_fma_f64 v[126:127], s[16:17], v[128:129], v[122:123]
	v_add_f64 v[98:99], v[136:137], v[98:99]
	v_add_f64 v[2:3], v[2:3], v[86:87]
	;; [unrolled: 1-line block ×3, first 2 shown]
	v_fma_f64 v[106:107], s[12:13], v[138:139], v[104:105]
	v_add_f64 v[98:99], v[126:127], v[98:99]
	v_mul_f64 v[94:95], v[94:95], s[6:7]
	v_add_f64 v[2:3], v[2:3], v[88:89]
	v_add_f64 v[0:1], v[0:1], v[64:65]
	;; [unrolled: 1-line block ×3, first 2 shown]
	v_mul_f64 v[106:107], v[144:145], s[14:15]
	v_mul_f64 v[108:109], v[108:109], s[24:25]
	v_fma_f64 v[144:145], v[44:45], s[2:3], -v[94:95]
	v_add_f64 v[2:3], v[2:3], v[90:91]
	v_add_f64 v[0:1], v[0:1], v[66:67]
	v_mul_f64 v[198:199], v[44:45], s[12:13]
	v_mul_f64 v[248:249], v[44:45], s[16:17]
	;; [unrolled: 1-line block ×3, first 2 shown]
	v_fma_f64 v[140:141], v[96:97], s[18:19], -v[108:109]
	v_add_f64 v[46:47], v[144:145], v[46:47]
	v_add_f64 v[2:3], v[2:3], v[92:93]
	;; [unrolled: 1-line block ×3, first 2 shown]
	v_mul_f64 v[226:227], v[96:97], s[8:9]
	v_mul_f64 v[242:243], v[96:97], s[22:23]
	v_add_f64 v[186:187], v[248:249], v[186:187]
	v_add_f64 v[166:167], v[166:167], -v[246:247]
	v_add_f64 v[158:159], v[198:199], v[158:159]
	v_mul_f64 v[126:127], v[134:135], s[28:29]
	v_fma_f64 v[136:137], v[110:111], s[8:9], -v[124:125]
	v_add_f64 v[46:47], v[140:141], v[46:47]
	v_fma_f64 v[50:51], v[50:51], s[2:3], -v[142:143]
	v_fmac_f64_e32 v[94:95], s[2:3], v[44:45]
	v_add_f64 v[2:3], v[2:3], v[32:33]
	v_add_f64 v[0:1], v[0:1], v[70:71]
	v_mul_f64 v[232:233], v[110:111], s[22:23]
	v_add_f64 v[192:193], v[242:243], v[192:193]
	v_add_f64 v[182:183], v[186:187], v[182:183]
	v_add_f64 v[170:171], v[170:171], -v[244:245]
	v_add_f64 v[162:163], v[166:167], v[162:163]
	v_add_f64 v[160:161], v[226:227], v[160:161]
	;; [unrolled: 1-line block ×3, first 2 shown]
	v_fma_f64 v[134:135], v[120:121], s[16:17], -v[126:127]
	v_add_f64 v[46:47], v[136:137], v[46:47]
	v_fma_f64 v[102:103], v[102:103], s[18:19], -v[118:119]
	v_add_f64 v[48:49], v[50:51], v[48:49]
	v_fmac_f64_e32 v[108:109], s[18:19], v[96:97]
	v_add_f64 v[42:43], v[94:95], v[42:43]
	v_add_f64 v[2:3], v[2:3], v[34:35]
	;; [unrolled: 1-line block ×3, first 2 shown]
	v_lshrrev_b32_e32 v32, 1, v52
	v_mul_f64 v[210:211], v[120:121], s[2:3]
	v_add_f64 v[182:183], v[192:193], v[182:183]
	v_add_f64 v[172:173], v[172:173], -v[240:241]
	v_add_f64 v[162:163], v[170:171], v[162:163]
	v_add_f64 v[164:165], v[232:233], v[164:165]
	;; [unrolled: 1-line block ×3, first 2 shown]
	v_fma_f64 v[98:99], v[132:133], s[12:13], -v[106:107]
	v_add_f64 v[46:47], v[134:135], v[46:47]
	v_fma_f64 v[116:117], v[116:117], s[8:9], -v[130:131]
	v_add_f64 v[48:49], v[102:103], v[48:49]
	v_fmac_f64_e32 v[124:125], s[8:9], v[110:111]
	v_add_f64 v[42:43], v[108:109], v[42:43]
	v_add_f64 v[2:3], v[2:3], v[36:37]
	;; [unrolled: 1-line block ×3, first 2 shown]
	v_mul_u32_u24_e32 v32, 26, v32
	v_mul_f64 v[242:243], v[132:133], s[16:17]
	v_mul_f64 v[248:249], v[150:151], s[28:29]
	v_add_f64 v[182:183], v[196:197], v[182:183]
	v_add_f64 v[176:177], v[176:177], -v[214:215]
	v_add_f64 v[162:163], v[172:173], v[162:163]
	v_add_f64 v[168:169], v[210:211], v[168:169]
	;; [unrolled: 1-line block ×4, first 2 shown]
	v_fma_f64 v[46:47], v[138:139], s[12:13], -v[104:105]
	v_fma_f64 v[104:105], v[128:129], s[16:17], -v[122:123]
	v_add_f64 v[48:49], v[116:117], v[48:49]
	v_fmac_f64_e32 v[126:127], s[16:17], v[120:121]
	v_add_f64 v[42:43], v[124:125], v[42:43]
	v_add_f64 v[2:3], v[2:3], v[38:39]
	;; [unrolled: 1-line block ×3, first 2 shown]
	v_or_b32_e32 v32, v32, v222
	v_add_f64 v[182:183], v[200:201], v[182:183]
	v_add_f64 v[178:179], v[178:179], -v[248:249]
	v_add_f64 v[162:163], v[176:177], v[162:163]
	v_add_f64 v[166:167], v[242:243], v[174:175]
	;; [unrolled: 1-line block ×4, first 2 shown]
	v_fmac_f64_e32 v[106:107], s[12:13], v[132:133]
	v_add_f64 v[42:43], v[126:127], v[42:43]
	v_add_f64 v[2:3], v[2:3], v[40:41]
	v_add_f64 v[0:1], v[0:1], v[78:79]
	v_lshl_add_u32 v32, v32, 4, 0
	v_add_f64 v[202:203], v[218:219], v[202:203]
	v_add_f64 v[200:201], v[208:209], v[182:183]
	;; [unrolled: 1-line block ×6, first 2 shown]
	ds_write_b128 v32, v[0:3]
	ds_write_b128 v32, v[44:47] offset:32
	ds_write_b128 v32, v[112:115] offset:64
	;; [unrolled: 1-line block ×12, first 2 shown]
.LBB0_15:
	s_or_b64 exec, exec, s[20:21]
	v_lshl_add_u32 v56, v52, 4, 0
	s_waitcnt lgkmcnt(0)
	s_barrier
	ds_read_b128 v[24:27], v56
	ds_read_b128 v[20:23], v56 offset:1872
	ds_read_b128 v[32:35], v56 offset:12480
	;; [unrolled: 1-line block ×8, first 2 shown]
	v_cmp_gt_u32_e64 s[2:3], 39, v52
	s_and_saveexec_b64 s[6:7], s[2:3]
	s_cbranch_execz .LBB0_17
; %bb.16:
	ds_read_b128 v[8:11], v56 offset:5616
	ds_read_b128 v[12:15], v56 offset:11856
	;; [unrolled: 1-line block ×3, first 2 shown]
.LBB0_17:
	s_or_b64 exec, exec, s[6:7]
	s_movk_i32 s6, 0x4f
	v_mul_lo_u16_sdwa v48, v52, s6 dst_sel:DWORD dst_unused:UNUSED_PAD src0_sel:BYTE_0 src1_sel:DWORD
	v_lshrrev_b16_e32 v59, 11, v48
	v_mul_lo_u16_e32 v48, 26, v59
	v_sub_u16_e32 v104, v52, v48
	v_mov_b32_e32 v48, 5
	v_lshlrev_b32_sdwa v49, v48, v104 dst_sel:DWORD dst_unused:UNUSED_PAD src0_sel:DWORD src1_sel:BYTE_0
	global_load_dwordx4 v[60:63], v49, s[4:5] offset:400
	global_load_dwordx4 v[64:67], v49, s[4:5] offset:384
	v_mul_lo_u16_sdwa v49, v53, s6 dst_sel:DWORD dst_unused:UNUSED_PAD src0_sel:BYTE_0 src1_sel:DWORD
	v_lshrrev_b16_e32 v105, 11, v49
	v_mul_lo_u16_e32 v49, 26, v105
	v_sub_u16_e32 v106, v53, v49
	v_lshlrev_b32_sdwa v48, v48, v106 dst_sel:DWORD dst_unused:UNUSED_PAD src0_sel:DWORD src1_sel:BYTE_0
	s_movk_i32 s6, 0x4ec5
	global_load_dwordx4 v[68:71], v48, s[4:5] offset:400
	global_load_dwordx4 v[72:75], v48, s[4:5] offset:384
	v_mul_u32_u24_sdwa v48, v221, s6 dst_sel:DWORD dst_unused:UNUSED_PAD src0_sel:WORD_0 src1_sel:DWORD
	v_lshrrev_b32_e32 v107, 19, v48
	v_mul_lo_u16_e32 v48, 26, v107
	v_sub_u16_e32 v108, v221, v48
	v_lshlrev_b32_e32 v48, 5, v108
	global_load_dwordx4 v[76:79], v48, s[4:5] offset:400
	global_load_dwordx4 v[80:83], v48, s[4:5] offset:384
	v_mul_u32_u24_sdwa v48, v220, s6 dst_sel:DWORD dst_unused:UNUSED_PAD src0_sel:WORD_0 src1_sel:DWORD
	v_lshrrev_b32_e32 v57, 19, v48
	v_mul_lo_u16_e32 v48, 26, v57
	v_sub_u16_e32 v58, v220, v48
	v_lshlrev_b32_e32 v48, 5, v58
	global_load_dwordx4 v[84:87], v48, s[4:5] offset:384
	global_load_dwordx4 v[88:91], v48, s[4:5] offset:400
	s_mov_b32 s6, 0xe8584caa
	s_mov_b32 s7, 0xbfebb67a
	;; [unrolled: 1-line block ×4, first 2 shown]
	s_waitcnt lgkmcnt(0)
	s_barrier
	s_waitcnt vmcnt(7)
	v_mul_f64 v[94:95], v[34:35], v[62:63]
	s_waitcnt vmcnt(6)
	v_mul_f64 v[92:93], v[46:47], v[66:67]
	v_mul_f64 v[66:67], v[44:45], v[66:67]
	;; [unrolled: 1-line block ×3, first 2 shown]
	v_fmac_f64_e32 v[92:93], v[44:45], v[64:65]
	v_fma_f64 v[44:45], v[46:47], v[64:65], -v[66:67]
	v_fmac_f64_e32 v[94:95], v[32:33], v[60:61]
	s_waitcnt vmcnt(5)
	v_mul_f64 v[98:99], v[2:3], v[70:71]
	s_waitcnt vmcnt(4)
	v_mul_f64 v[96:97], v[42:43], v[74:75]
	v_mul_f64 v[74:75], v[40:41], v[74:75]
	;; [unrolled: 1-line block ×3, first 2 shown]
	v_fma_f64 v[32:33], v[34:35], v[60:61], -v[62:63]
	v_fma_f64 v[34:35], v[42:43], v[72:73], -v[74:75]
	v_fmac_f64_e32 v[98:99], v[0:1], v[68:69]
	s_waitcnt vmcnt(2)
	v_mul_f64 v[100:101], v[38:39], v[82:83]
	v_fma_f64 v[0:1], v[2:3], v[68:69], -v[70:71]
	v_mul_f64 v[82:83], v[36:37], v[82:83]
	v_fmac_f64_e32 v[96:97], v[40:41], v[72:73]
	v_fmac_f64_e32 v[100:101], v[36:37], v[80:81]
	s_waitcnt vmcnt(1)
	v_mul_f64 v[48:49], v[14:15], v[86:87]
	v_mul_f64 v[86:87], v[12:13], v[86:87]
	s_waitcnt vmcnt(0)
	v_mul_f64 v[50:51], v[6:7], v[90:91]
	v_mul_f64 v[90:91], v[4:5], v[90:91]
	v_add_f64 v[36:37], v[26:27], v[44:45]
	v_add_f64 v[62:63], v[22:23], v[34:35]
	;; [unrolled: 1-line block ×3, first 2 shown]
	v_mul_f64 v[102:103], v[30:31], v[78:79]
	v_fma_f64 v[2:3], v[38:39], v[80:81], -v[82:83]
	v_fmac_f64_e32 v[48:49], v[12:13], v[84:85]
	v_fma_f64 v[12:13], v[14:15], v[84:85], -v[86:87]
	v_fma_f64 v[14:15], v[6:7], v[88:89], -v[90:91]
	v_add_f64 v[6:7], v[92:93], v[94:95]
	v_add_f64 v[40:41], v[44:45], -v[32:33]
	v_add_f64 v[38:39], v[44:45], v[32:33]
	v_add_f64 v[44:45], v[20:21], v[96:97]
	;; [unrolled: 1-line block ×3, first 2 shown]
	v_add_f64 v[60:61], v[34:35], -v[0:1]
	v_add_f64 v[32:33], v[36:37], v[32:33]
	v_add_f64 v[36:37], v[62:63], v[0:1]
	v_fmac_f64_e32 v[22:23], -0.5, v[64:65]
	v_add_f64 v[0:1], v[96:97], -v[98:99]
	v_mul_f64 v[78:79], v[28:29], v[78:79]
	v_fmac_f64_e32 v[102:103], v[28:29], v[76:77]
	v_fmac_f64_e32 v[50:51], v[4:5], v[88:89]
	v_add_f64 v[4:5], v[24:25], v[92:93]
	v_add_f64 v[42:43], v[92:93], -v[94:95]
	v_fmac_f64_e32 v[24:25], -0.5, v[6:7]
	v_fmac_f64_e32 v[26:27], -0.5, v[38:39]
	v_add_f64 v[34:35], v[44:45], v[98:99]
	v_fmac_f64_e32 v[20:21], -0.5, v[46:47]
	v_fma_f64 v[44:45], s[8:9], v[0:1], v[22:23]
	v_fmac_f64_e32 v[22:23], s[6:7], v[0:1]
	v_add_f64 v[0:1], v[16:17], v[100:101]
	v_fma_f64 v[28:29], v[30:31], v[76:77], -v[78:79]
	v_fma_f64 v[38:39], s[6:7], v[40:41], v[24:25]
	v_fmac_f64_e32 v[24:25], s[8:9], v[40:41]
	v_fma_f64 v[40:41], s[8:9], v[42:43], v[26:27]
	v_fmac_f64_e32 v[26:27], s[6:7], v[42:43]
	;; [unrolled: 2-line block ×3, first 2 shown]
	v_add_f64 v[60:61], v[0:1], v[102:103]
	v_add_f64 v[0:1], v[100:101], v[102:103]
	v_fmac_f64_e32 v[16:17], -0.5, v[0:1]
	v_add_f64 v[0:1], v[2:3], -v[28:29]
	v_fma_f64 v[64:65], s[6:7], v[0:1], v[16:17]
	v_fmac_f64_e32 v[16:17], s[8:9], v[0:1]
	v_add_f64 v[0:1], v[18:19], v[2:3]
	v_add_f64 v[62:63], v[0:1], v[28:29]
	;; [unrolled: 1-line block ×3, first 2 shown]
	v_fmac_f64_e32 v[18:19], -0.5, v[0:1]
	v_add_f64 v[0:1], v[100:101], -v[102:103]
	v_fma_f64 v[66:67], s[8:9], v[0:1], v[18:19]
	v_fmac_f64_e32 v[18:19], s[6:7], v[0:1]
	v_add_f64 v[0:1], v[48:49], v[50:51]
	v_add_f64 v[30:31], v[4:5], v[94:95]
	v_fma_f64 v[4:5], -0.5, v[0:1], v[8:9]
	v_add_f64 v[2:3], v[12:13], -v[14:15]
	v_fma_f64 v[0:1], s[6:7], v[2:3], v[4:5]
	v_fmac_f64_e32 v[4:5], s[8:9], v[2:3]
	v_add_f64 v[2:3], v[12:13], v[14:15]
	v_fma_f64 v[6:7], -0.5, v[2:3], v[10:11]
	v_add_f64 v[28:29], v[48:49], -v[50:51]
	v_fma_f64 v[2:3], s[8:9], v[28:29], v[6:7]
	v_fmac_f64_e32 v[6:7], s[6:7], v[28:29]
	v_mov_b32_e32 v28, 4
	v_mul_u32_u24_e32 v29, 0x4e0, v59
	v_lshlrev_b32_sdwa v46, v28, v104 dst_sel:DWORD dst_unused:UNUSED_PAD src0_sel:DWORD src1_sel:BYTE_0
	v_add3_u32 v29, 0, v29, v46
	ds_write_b128 v29, v[30:33]
	ds_write_b128 v29, v[38:41] offset:416
	ds_write_b128 v29, v[24:27] offset:832
	v_mul_u32_u24_e32 v24, 0x4e0, v105
	v_lshlrev_b32_sdwa v25, v28, v106 dst_sel:DWORD dst_unused:UNUSED_PAD src0_sel:DWORD src1_sel:BYTE_0
	v_add3_u32 v24, 0, v24, v25
	ds_write_b128 v24, v[34:37]
	ds_write_b128 v24, v[42:45] offset:416
	ds_write_b128 v24, v[20:23] offset:832
	v_mul_u32_u24_e32 v20, 0x4e0, v107
	v_lshlrev_b32_e32 v21, 4, v108
	v_add3_u32 v20, 0, v20, v21
	ds_write_b128 v20, v[60:63]
	ds_write_b128 v20, v[64:67] offset:416
	ds_write_b128 v20, v[16:19] offset:832
	s_and_saveexec_b64 s[6:7], s[2:3]
	s_cbranch_execz .LBB0_19
; %bb.18:
	v_add_f64 v[10:11], v[10:11], v[12:13]
	v_mul_lo_u16_e32 v12, 0x4e, v57
	v_add_f64 v[8:9], v[8:9], v[48:49]
	v_lshlrev_b32_e32 v13, 4, v58
	v_lshlrev_b32_e32 v12, 4, v12
	v_add_f64 v[10:11], v[10:11], v[14:15]
	v_add_f64 v[8:9], v[8:9], v[50:51]
	v_add3_u32 v12, 0, v13, v12
	ds_write_b128 v12, v[8:11]
	ds_write_b128 v12, v[0:3] offset:416
	ds_write_b128 v12, v[4:7] offset:832
.LBB0_19:
	s_or_b64 exec, exec, s[6:7]
	s_movk_i32 s6, 0x4e
	v_add_u32_e32 v8, 0xffffffb2, v52
	v_cmp_gt_u32_e32 vcc, s6, v52
	v_mov_b32_e32 v9, 0
	s_waitcnt lgkmcnt(0)
	v_cndmask_b32_e32 v29, v8, v52, vcc
	v_lshlrev_b32_e32 v8, 2, v29
	v_lshl_add_u64 v[12:13], v[8:9], 4, s[4:5]
	s_barrier
	global_load_dwordx4 v[8:11], v[12:13], off offset:1216
	global_load_dwordx4 v[20:23], v[12:13], off offset:1232
	;; [unrolled: 1-line block ×4, first 2 shown]
	v_lshrrev_b16_e32 v12, 1, v53
	v_and_b32_e32 v12, 0x7f, v12
	v_mul_lo_u16_e32 v12, 0xd3, v12
	v_lshrrev_b16_e32 v57, 13, v12
	v_mul_lo_u16_e32 v12, 0x4e, v57
	v_mov_b32_e32 v13, 6
	v_sub_u16_e32 v96, v53, v12
	v_lshlrev_b32_sdwa v12, v13, v96 dst_sel:DWORD dst_unused:UNUSED_PAD src0_sel:DWORD src1_sel:BYTE_0
	global_load_dwordx4 v[34:37], v12, s[4:5] offset:1216
	global_load_dwordx4 v[38:41], v12, s[4:5] offset:1232
	;; [unrolled: 1-line block ×4, first 2 shown]
	ds_read_b128 v[16:19], v56
	ds_read_b128 v[12:15], v56 offset:1872
	ds_read_b128 v[58:61], v56 offset:3744
	;; [unrolled: 1-line block ×9, first 2 shown]
	s_mov_b32 s8, 0x134454ff
	s_mov_b32 s9, 0xbfee6f0e
	;; [unrolled: 1-line block ×10, first 2 shown]
	v_lshlrev_b32_e32 v29, 4, v29
	s_waitcnt lgkmcnt(0)
	s_barrier
	s_waitcnt vmcnt(7)
	v_mul_f64 v[50:51], v[60:61], v[10:11]
	s_waitcnt vmcnt(6)
	v_mul_f64 v[90:91], v[68:69], v[22:23]
	s_waitcnt vmcnt(5)
	v_mul_f64 v[92:93], v[76:77], v[26:27]
	v_mul_f64 v[10:11], v[58:59], v[10:11]
	v_mul_f64 v[22:23], v[66:67], v[22:23]
	s_waitcnt vmcnt(4)
	v_mul_f64 v[94:95], v[84:85], v[32:33]
	v_mul_f64 v[32:33], v[82:83], v[32:33]
	v_fmac_f64_e32 v[50:51], v[58:59], v[8:9]
	v_fmac_f64_e32 v[90:91], v[66:67], v[20:21]
	;; [unrolled: 1-line block ×3, first 2 shown]
	v_mul_f64 v[26:27], v[74:75], v[26:27]
	v_fma_f64 v[8:9], v[60:61], v[8:9], -v[10:11]
	v_fma_f64 v[10:11], v[68:69], v[20:21], -v[22:23]
	v_fmac_f64_e32 v[94:95], v[82:83], v[30:31]
	v_fma_f64 v[60:61], v[84:85], v[30:31], -v[32:33]
	v_add_f64 v[20:21], v[16:17], v[50:51]
	v_add_f64 v[22:23], v[90:91], v[92:93]
	v_fma_f64 v[58:59], v[76:77], v[24:25], -v[26:27]
	v_add_f64 v[26:27], v[8:9], -v[60:61]
	v_add_f64 v[24:25], v[50:51], -v[90:91]
	v_add_f64 v[30:31], v[94:95], -v[92:93]
	v_add_f64 v[82:83], v[20:21], v[90:91]
	v_fma_f64 v[20:21], -0.5, v[22:23], v[16:17]
	v_add_f64 v[32:33], v[10:11], -v[58:59]
	v_add_f64 v[22:23], v[24:25], v[30:31]
	v_fma_f64 v[24:25], s[8:9], v[26:27], v[20:21]
	v_fmac_f64_e32 v[20:21], s[12:13], v[26:27]
	v_fmac_f64_e32 v[24:25], s[6:7], v[32:33]
	;; [unrolled: 1-line block ×5, first 2 shown]
	v_add_f64 v[22:23], v[50:51], v[94:95]
	s_waitcnt vmcnt(3)
	v_mul_f64 v[66:67], v[64:65], v[36:37]
	v_mul_f64 v[36:37], v[62:63], v[36:37]
	v_fmac_f64_e32 v[16:17], -0.5, v[22:23]
	v_fmac_f64_e32 v[66:67], v[62:63], v[34:35]
	v_fma_f64 v[62:63], v[64:65], v[34:35], -v[36:37]
	v_fma_f64 v[34:35], s[12:13], v[32:33], v[16:17]
	v_add_f64 v[22:23], v[90:91], -v[50:51]
	v_add_f64 v[36:37], v[92:93], -v[94:95]
	v_fmac_f64_e32 v[16:17], s[8:9], v[32:33]
	v_fmac_f64_e32 v[34:35], s[6:7], v[26:27]
	v_add_f64 v[22:23], v[22:23], v[36:37]
	v_fmac_f64_e32 v[16:17], s[14:15], v[26:27]
	v_fmac_f64_e32 v[34:35], s[10:11], v[22:23]
	;; [unrolled: 1-line block ×3, first 2 shown]
	v_add_f64 v[22:23], v[18:19], v[8:9]
	v_add_f64 v[22:23], v[22:23], v[10:11]
	;; [unrolled: 1-line block ×3, first 2 shown]
	s_waitcnt vmcnt(2)
	v_mul_f64 v[68:69], v[72:73], v[40:41]
	v_mul_f64 v[40:41], v[70:71], v[40:41]
	v_add_f64 v[32:33], v[22:23], v[60:61]
	v_add_f64 v[22:23], v[10:11], v[58:59]
	s_waitcnt vmcnt(1)
	v_mul_f64 v[74:75], v[80:81], v[44:45]
	v_mul_f64 v[44:45], v[78:79], v[44:45]
	v_fmac_f64_e32 v[68:69], v[70:71], v[38:39]
	v_fma_f64 v[64:65], v[72:73], v[38:39], -v[40:41]
	v_fma_f64 v[22:23], -0.5, v[22:23], v[18:19]
	v_add_f64 v[38:39], v[50:51], -v[94:95]
	v_fmac_f64_e32 v[74:75], v[78:79], v[42:43]
	v_fma_f64 v[70:71], v[80:81], v[42:43], -v[44:45]
	v_fma_f64 v[26:27], s[12:13], v[38:39], v[22:23]
	v_add_f64 v[40:41], v[90:91], -v[92:93]
	v_add_f64 v[36:37], v[8:9], -v[10:11]
	;; [unrolled: 1-line block ×3, first 2 shown]
	v_fmac_f64_e32 v[22:23], s[8:9], v[38:39]
	v_fmac_f64_e32 v[26:27], s[14:15], v[40:41]
	v_add_f64 v[36:37], v[36:37], v[42:43]
	v_fmac_f64_e32 v[22:23], s[6:7], v[40:41]
	v_fmac_f64_e32 v[26:27], s[10:11], v[36:37]
	;; [unrolled: 1-line block ×3, first 2 shown]
	v_add_f64 v[36:37], v[8:9], v[60:61]
	v_fmac_f64_e32 v[18:19], -0.5, v[36:37]
	v_fma_f64 v[36:37], s[8:9], v[40:41], v[18:19]
	v_add_f64 v[8:9], v[10:11], -v[8:9]
	v_add_f64 v[10:11], v[58:59], -v[60:61]
	v_fmac_f64_e32 v[18:19], s[12:13], v[40:41]
	v_fmac_f64_e32 v[36:37], s[14:15], v[38:39]
	v_add_f64 v[8:9], v[8:9], v[10:11]
	v_fmac_f64_e32 v[18:19], s[6:7], v[38:39]
	v_fmac_f64_e32 v[36:37], s[10:11], v[8:9]
	v_fmac_f64_e32 v[18:19], s[10:11], v[8:9]
	v_add_f64 v[8:9], v[12:13], v[66:67]
	s_waitcnt vmcnt(0)
	v_mul_f64 v[76:77], v[88:89], v[48:49]
	v_add_f64 v[8:9], v[8:9], v[68:69]
	v_mul_f64 v[48:49], v[86:87], v[48:49]
	v_fmac_f64_e32 v[76:77], v[86:87], v[46:47]
	v_add_f64 v[8:9], v[8:9], v[74:75]
	v_fma_f64 v[72:73], v[88:89], v[46:47], -v[48:49]
	v_add_f64 v[38:39], v[8:9], v[76:77]
	v_add_f64 v[8:9], v[68:69], v[74:75]
	v_fma_f64 v[8:9], -0.5, v[8:9], v[12:13]
	v_add_f64 v[10:11], v[62:63], -v[72:73]
	v_fma_f64 v[42:43], s[8:9], v[10:11], v[8:9]
	v_add_f64 v[40:41], v[64:65], -v[70:71]
	v_add_f64 v[44:45], v[66:67], -v[68:69]
	;; [unrolled: 1-line block ×3, first 2 shown]
	v_fmac_f64_e32 v[8:9], s[12:13], v[10:11]
	v_fmac_f64_e32 v[42:43], s[6:7], v[40:41]
	v_add_f64 v[44:45], v[44:45], v[46:47]
	v_fmac_f64_e32 v[8:9], s[14:15], v[40:41]
	v_fmac_f64_e32 v[42:43], s[10:11], v[44:45]
	;; [unrolled: 1-line block ×3, first 2 shown]
	v_add_f64 v[44:45], v[66:67], v[76:77]
	v_fmac_f64_e32 v[12:13], -0.5, v[44:45]
	v_fma_f64 v[46:47], s[12:13], v[40:41], v[12:13]
	v_fmac_f64_e32 v[12:13], s[8:9], v[40:41]
	v_fmac_f64_e32 v[46:47], s[6:7], v[10:11]
	;; [unrolled: 1-line block ×3, first 2 shown]
	v_add_f64 v[10:11], v[14:15], v[62:63]
	v_add_f64 v[10:11], v[10:11], v[64:65]
	;; [unrolled: 1-line block ×3, first 2 shown]
	v_add_f64 v[44:45], v[68:69], -v[66:67]
	v_add_f64 v[48:49], v[74:75], -v[76:77]
	v_add_f64 v[40:41], v[10:11], v[72:73]
	v_add_f64 v[10:11], v[64:65], v[70:71]
	;; [unrolled: 1-line block ×3, first 2 shown]
	v_fma_f64 v[10:11], -0.5, v[10:11], v[14:15]
	v_add_f64 v[50:51], v[66:67], -v[76:77]
	v_fmac_f64_e32 v[46:47], s[10:11], v[44:45]
	v_fmac_f64_e32 v[12:13], s[10:11], v[44:45]
	v_fma_f64 v[44:45], s[12:13], v[50:51], v[10:11]
	v_add_f64 v[58:59], v[68:69], -v[74:75]
	v_add_f64 v[48:49], v[62:63], -v[64:65]
	;; [unrolled: 1-line block ×3, first 2 shown]
	v_fmac_f64_e32 v[10:11], s[8:9], v[50:51]
	v_fmac_f64_e32 v[44:45], s[14:15], v[58:59]
	v_add_f64 v[48:49], v[48:49], v[60:61]
	v_fmac_f64_e32 v[10:11], s[6:7], v[58:59]
	v_fmac_f64_e32 v[44:45], s[10:11], v[48:49]
	;; [unrolled: 1-line block ×3, first 2 shown]
	v_add_f64 v[48:49], v[62:63], v[72:73]
	v_fmac_f64_e32 v[14:15], -0.5, v[48:49]
	v_fma_f64 v[48:49], s[8:9], v[58:59], v[14:15]
	v_fmac_f64_e32 v[14:15], s[12:13], v[58:59]
	v_fmac_f64_e32 v[14:15], s[6:7], v[50:51]
	s_movk_i32 s6, 0x4d
	v_fmac_f64_e32 v[48:49], s[14:15], v[50:51]
	v_mov_b32_e32 v50, 0x1860
	v_cmp_lt_u32_e32 vcc, s6, v52
	v_add_f64 v[30:31], v[82:83], v[92:93]
	v_add_f64 v[30:31], v[30:31], v[94:95]
	v_cndmask_b32_e32 v50, 0, v50, vcc
	v_add_f64 v[60:61], v[64:65], -v[62:63]
	v_add_f64 v[62:63], v[70:71], -v[72:73]
	v_add3_u32 v29, 0, v50, v29
	v_add_f64 v[60:61], v[60:61], v[62:63]
	ds_write_b128 v29, v[30:33]
	ds_write_b128 v29, v[24:27] offset:1248
	ds_write_b128 v29, v[34:37] offset:2496
	;; [unrolled: 1-line block ×4, first 2 shown]
	v_mul_u32_u24_e32 v16, 0x1860, v57
	v_lshlrev_b32_sdwa v17, v28, v96 dst_sel:DWORD dst_unused:UNUSED_PAD src0_sel:DWORD src1_sel:BYTE_0
	v_fmac_f64_e32 v[14:15], s[10:11], v[60:61]
	v_add3_u32 v16, 0, v16, v17
	v_fmac_f64_e32 v[48:49], s[10:11], v[60:61]
	ds_write_b128 v16, v[38:41]
	ds_write_b128 v16, v[42:45] offset:1248
	ds_write_b128 v16, v[46:49] offset:2496
	;; [unrolled: 1-line block ×4, first 2 shown]
	s_waitcnt lgkmcnt(0)
	s_barrier
	ds_read_b128 v[12:15], v56
	ds_read_b128 v[20:23], v56 offset:1872
	ds_read_b128 v[16:19], v56 offset:12480
	;; [unrolled: 1-line block ×8, first 2 shown]
	s_and_saveexec_b64 s[6:7], s[2:3]
	s_cbranch_execz .LBB0_21
; %bb.20:
	ds_read_b128 v[8:11], v56 offset:5616
	ds_read_b128 v[0:3], v56 offset:11856
	;; [unrolled: 1-line block ×3, first 2 shown]
.LBB0_21:
	s_or_b64 exec, exec, s[6:7]
	s_and_saveexec_b64 s[6:7], s[0:1]
	s_cbranch_execz .LBB0_24
; %bb.22:
	v_lshlrev_b32_e32 v48, 1, v221
	v_mov_b32_e32 v49, 0
	v_lshl_add_u64 v[56:57], v[48:49], 4, s[4:5]
	s_movk_i32 s10, 0x1000
	v_lshlrev_b32_e32 v64, 1, v53
	v_add_co_u32_e32 v68, vcc, s10, v56
	v_mov_b32_e32 v65, v49
	s_nop 0
	v_addc_co_u32_e32 v69, vcc, 0, v57, vcc
	v_lshl_add_u64 v[64:65], v[64:65], 4, s[4:5]
	v_lshlrev_b32_e32 v50, 1, v52
	s_mov_b64 s[0:1], 0x1840
	v_add_co_u32_e32 v74, vcc, s10, v64
	v_mov_b32_e32 v51, v49
	v_lshl_add_u64 v[66:67], v[56:57], 0, s[0:1]
	global_load_dwordx4 v[56:59], v[68:69], off offset:2112
	global_load_dwordx4 v[60:63], v[66:67], off offset:16
	v_addc_co_u32_e32 v75, vcc, 0, v65, vcc
	v_lshl_add_u64 v[50:51], v[50:51], 4, s[4:5]
	v_lshl_add_u64 v[72:73], v[64:65], 0, s[0:1]
	global_load_dwordx4 v[64:67], v[74:75], off offset:2112
	global_load_dwordx4 v[68:71], v[72:73], off offset:16
	v_lshl_add_u64 v[80:81], v[50:51], 0, s[0:1]
	v_add_co_u32_e32 v50, vcc, s10, v50
	s_mov_b32 s6, 0xe8584caa
	s_nop 0
	v_addc_co_u32_e32 v51, vcc, 0, v51, vcc
	global_load_dwordx4 v[72:75], v[50:51], off offset:2112
	global_load_dwordx4 v[76:79], v[80:81], off offset:16
	s_mov_b32 s7, 0xbfebb67a
	s_mov_b32 s9, 0x3febb67a
	s_mov_b32 s8, s6
	v_mov_b32_e32 v53, v49
	s_waitcnt vmcnt(5) lgkmcnt(1)
	v_mul_f64 v[50:51], v[40:41], v[58:59]
	s_waitcnt vmcnt(4) lgkmcnt(0)
	v_mul_f64 v[80:81], v[44:45], v[62:63]
	v_mul_f64 v[58:59], v[42:43], v[58:59]
	;; [unrolled: 1-line block ×3, first 2 shown]
	v_fma_f64 v[42:43], v[42:43], v[56:57], -v[50:51]
	v_fmac_f64_e32 v[58:59], v[40:41], v[56:57]
	v_fmac_f64_e32 v[62:63], v[44:45], v[60:61]
	s_waitcnt vmcnt(3)
	v_mul_f64 v[40:41], v[36:37], v[66:67]
	s_waitcnt vmcnt(2)
	v_mul_f64 v[44:45], v[32:33], v[70:71]
	v_mul_f64 v[50:51], v[38:39], v[66:67]
	;; [unrolled: 1-line block ×3, first 2 shown]
	v_fma_f64 v[46:47], v[46:47], v[60:61], -v[80:81]
	s_waitcnt vmcnt(1)
	v_mul_f64 v[70:71], v[30:31], v[74:75]
	v_add_f64 v[80:81], v[58:59], -v[62:63]
	v_add_f64 v[84:85], v[58:59], v[62:63]
	v_add_f64 v[58:59], v[24:25], v[58:59]
	v_fma_f64 v[38:39], v[38:39], v[64:65], -v[40:41]
	v_fma_f64 v[40:41], v[34:35], v[68:69], -v[44:45]
	v_fmac_f64_e32 v[50:51], v[36:37], v[64:65]
	v_fmac_f64_e32 v[56:57], v[32:33], v[68:69]
	v_mul_f64 v[60:61], v[28:29], v[74:75]
	s_waitcnt vmcnt(0)
	v_mul_f64 v[66:67], v[16:17], v[78:79]
	v_add_f64 v[82:83], v[26:27], v[42:43]
	v_fmac_f64_e32 v[70:71], v[28:29], v[72:73]
	v_add_f64 v[28:29], v[58:59], v[62:63]
	v_add_f64 v[36:37], v[38:39], v[40:41]
	v_add_f64 v[44:45], v[50:51], -v[56:57]
	v_add_f64 v[62:63], v[50:51], v[56:57]
	v_add_f64 v[50:51], v[20:21], v[50:51]
	;; [unrolled: 1-line block ×3, first 2 shown]
	v_add_f64 v[42:43], v[42:43], -v[46:47]
	v_fma_f64 v[60:61], v[30:31], v[72:73], -v[60:61]
	v_fma_f64 v[64:65], v[18:19], v[76:77], -v[66:67]
	v_add_f64 v[30:31], v[82:83], v[46:47]
	v_add_f64 v[46:47], v[22:23], v[38:39]
	v_fma_f64 v[22:23], -0.5, v[36:37], v[22:23]
	v_add_f64 v[36:37], v[50:51], v[56:57]
	v_mul_f64 v[50:51], v[18:19], v[78:79]
	v_fma_f64 v[24:25], -0.5, v[84:85], v[24:25]
	v_add_f64 v[66:67], v[60:61], v[64:65]
	v_fmac_f64_e32 v[50:51], v[16:17], v[76:77]
	v_fma_f64 v[32:33], s[8:9], v[42:43], v[24:25]
	v_fmac_f64_e32 v[24:25], s[6:7], v[42:43]
	v_fma_f64 v[42:43], -0.5, v[66:67], v[14:15]
	v_add_f64 v[16:17], v[70:71], -v[50:51]
	v_add_f64 v[58:59], v[38:39], -v[40:41]
	v_fma_f64 v[20:21], -0.5, v[62:63], v[20:21]
	v_fma_f64 v[18:19], s[6:7], v[16:17], v[42:43]
	v_fmac_f64_e32 v[42:43], s[8:9], v[16:17]
	v_add_f64 v[14:15], v[14:15], v[60:61]
	v_add_f64 v[16:17], v[70:71], v[50:51]
	;; [unrolled: 1-line block ×3, first 2 shown]
	v_fma_f64 v[46:47], s[6:7], v[44:45], v[22:23]
	v_fmac_f64_e32 v[22:23], s[8:9], v[44:45]
	v_fma_f64 v[44:45], s[8:9], v[58:59], v[20:21]
	v_fmac_f64_e32 v[20:21], s[6:7], v[58:59]
	v_add_f64 v[58:59], v[14:15], v[64:65]
	v_add_f64 v[14:15], v[60:61], -v[64:65]
	v_fma_f64 v[40:41], -0.5, v[16:17], v[12:13]
	v_fma_f64 v[16:17], s[8:9], v[14:15], v[40:41]
	v_fmac_f64_e32 v[40:41], s[6:7], v[14:15]
	v_add_f64 v[12:13], v[12:13], v[70:71]
	v_lshl_add_u64 v[14:15], v[52:53], 4, v[54:55]
	v_add_f64 v[56:57], v[12:13], v[50:51]
	v_add_co_u32_e32 v12, vcc, s10, v14
	s_movk_i32 s10, 0x3000
	s_nop 0
	v_addc_co_u32_e32 v13, vcc, 0, v15, vcc
	global_store_dwordx4 v[12:13], v[40:43], off offset:2144
	global_store_dwordx4 v[14:15], v[56:59], off
	v_fma_f64 v[26:27], -0.5, v[74:75], v[26:27]
	v_add_co_u32_e32 v40, vcc, s10, v14
	s_mov_b32 s10, 0xa80a80a9
	s_nop 0
	v_addc_co_u32_e32 v41, vcc, 0, v15, vcc
	global_store_dwordx4 v[40:41], v[16:19], off offset:192
	global_store_dwordx4 v[14:15], v[36:39], off offset:1872
	;; [unrolled: 1-line block ×4, first 2 shown]
	v_lshrrev_b32_e32 v16, 1, v221
	v_mul_hi_u32 v16, v16, s10
	v_lshrrev_b32_e32 v16, 7, v16
	v_mul_u32_u24_e32 v48, 0x30c, v16
	v_lshl_add_u64 v[16:17], v[48:49], 4, v[14:15]
	v_add_co_u32_e32 v18, vcc, 0x2000, v16
	global_store_dwordx4 v[16:17], v[28:31], off offset:3744
	s_nop 0
	v_addc_co_u32_e32 v19, vcc, 0, v17, vcc
	v_add_co_u32_e32 v16, vcc, 0x3000, v16
	v_fma_f64 v[34:35], s[6:7], v[80:81], v[26:27]
	v_fmac_f64_e32 v[26:27], s[8:9], v[80:81]
	v_addc_co_u32_e32 v17, vcc, 0, v17, vcc
	global_store_dwordx4 v[18:19], v[24:27], off offset:1792
	global_store_dwordx4 v[16:17], v[32:35], off offset:3936
	s_and_b64 exec, exec, s[2:3]
	s_cbranch_execz .LBB0_24
; %bb.23:
	v_subrev_u32_e32 v16, 39, v52
	v_cndmask_b32_e64 v16, v16, v220, s[2:3]
	v_lshlrev_b32_e32 v48, 1, v16
	v_lshl_add_u64 v[20:21], v[48:49], 4, s[4:5]
	v_add_co_u32_e32 v16, vcc, 0x1000, v20
	s_nop 1
	v_addc_co_u32_e32 v17, vcc, 0, v21, vcc
	v_lshl_add_u64 v[20:21], v[20:21], 0, s[0:1]
	global_load_dwordx4 v[16:19], v[16:17], off offset:2112
	v_add_co_u32_e32 v24, vcc, 0x2000, v14
	global_load_dwordx4 v[20:23], v[20:21], off offset:16
	s_nop 0
	v_addc_co_u32_e32 v25, vcc, 0, v15, vcc
	v_add_co_u32_e32 v14, vcc, 0x4000, v14
	s_waitcnt vmcnt(1)
	v_mul_f64 v[26:27], v[2:3], v[18:19]
	v_mul_f64 v[18:19], v[0:1], v[18:19]
	v_fmac_f64_e32 v[26:27], v[0:1], v[16:17]
	s_waitcnt vmcnt(0)
	v_mul_f64 v[28:29], v[6:7], v[22:23]
	v_mul_f64 v[22:23], v[4:5], v[22:23]
	v_fma_f64 v[0:1], v[2:3], v[16:17], -v[18:19]
	v_fmac_f64_e32 v[28:29], v[4:5], v[20:21]
	v_fma_f64 v[2:3], v[6:7], v[20:21], -v[22:23]
	v_add_f64 v[4:5], v[8:9], v[26:27]
	v_add_f64 v[6:7], v[26:27], v[28:29]
	;; [unrolled: 1-line block ×4, first 2 shown]
	v_add_f64 v[16:17], v[0:1], -v[2:3]
	v_add_f64 v[22:23], v[26:27], -v[28:29]
	v_add_f64 v[0:1], v[4:5], v[28:29]
	v_fmac_f64_e32 v[8:9], -0.5, v[6:7]
	v_add_f64 v[2:3], v[18:19], v[2:3]
	v_fmac_f64_e32 v[10:11], -0.5, v[20:21]
	v_addc_co_u32_e32 v15, vcc, 0, v15, vcc
	v_fma_f64 v[4:5], s[6:7], v[16:17], v[8:9]
	v_fmac_f64_e32 v[8:9], s[8:9], v[16:17]
	v_fma_f64 v[6:7], s[8:9], v[22:23], v[10:11]
	v_fmac_f64_e32 v[10:11], s[6:7], v[22:23]
	global_store_dwordx4 v[12:13], v[0:3], off offset:1520
	global_store_dwordx4 v[24:25], v[4:7], off offset:3664
	;; [unrolled: 1-line block ×3, first 2 shown]
.LBB0_24:
	s_endpgm
	.section	.rodata,"a",@progbits
	.p2align	6, 0x0
	.amdhsa_kernel fft_rtc_back_len1170_factors_2_13_3_5_3_wgs_117_tpt_117_dp_ip_CI_unitstride_sbrr_dirReg
		.amdhsa_group_segment_fixed_size 0
		.amdhsa_private_segment_fixed_size 0
		.amdhsa_kernarg_size 88
		.amdhsa_user_sgpr_count 2
		.amdhsa_user_sgpr_dispatch_ptr 0
		.amdhsa_user_sgpr_queue_ptr 0
		.amdhsa_user_sgpr_kernarg_segment_ptr 1
		.amdhsa_user_sgpr_dispatch_id 0
		.amdhsa_user_sgpr_kernarg_preload_length 0
		.amdhsa_user_sgpr_kernarg_preload_offset 0
		.amdhsa_user_sgpr_private_segment_size 0
		.amdhsa_uses_dynamic_stack 0
		.amdhsa_enable_private_segment 0
		.amdhsa_system_sgpr_workgroup_id_x 1
		.amdhsa_system_sgpr_workgroup_id_y 0
		.amdhsa_system_sgpr_workgroup_id_z 0
		.amdhsa_system_sgpr_workgroup_info 0
		.amdhsa_system_vgpr_workitem_id 0
		.amdhsa_next_free_vgpr 250
		.amdhsa_next_free_sgpr 42
		.amdhsa_accum_offset 252
		.amdhsa_reserve_vcc 1
		.amdhsa_float_round_mode_32 0
		.amdhsa_float_round_mode_16_64 0
		.amdhsa_float_denorm_mode_32 3
		.amdhsa_float_denorm_mode_16_64 3
		.amdhsa_dx10_clamp 1
		.amdhsa_ieee_mode 1
		.amdhsa_fp16_overflow 0
		.amdhsa_tg_split 0
		.amdhsa_exception_fp_ieee_invalid_op 0
		.amdhsa_exception_fp_denorm_src 0
		.amdhsa_exception_fp_ieee_div_zero 0
		.amdhsa_exception_fp_ieee_overflow 0
		.amdhsa_exception_fp_ieee_underflow 0
		.amdhsa_exception_fp_ieee_inexact 0
		.amdhsa_exception_int_div_zero 0
	.end_amdhsa_kernel
	.text
.Lfunc_end0:
	.size	fft_rtc_back_len1170_factors_2_13_3_5_3_wgs_117_tpt_117_dp_ip_CI_unitstride_sbrr_dirReg, .Lfunc_end0-fft_rtc_back_len1170_factors_2_13_3_5_3_wgs_117_tpt_117_dp_ip_CI_unitstride_sbrr_dirReg
                                        ; -- End function
	.section	.AMDGPU.csdata,"",@progbits
; Kernel info:
; codeLenInByte = 10084
; NumSgprs: 48
; NumVgprs: 250
; NumAgprs: 0
; TotalNumVgprs: 250
; ScratchSize: 0
; MemoryBound: 1
; FloatMode: 240
; IeeeMode: 1
; LDSByteSize: 0 bytes/workgroup (compile time only)
; SGPRBlocks: 5
; VGPRBlocks: 31
; NumSGPRsForWavesPerEU: 48
; NumVGPRsForWavesPerEU: 250
; AccumOffset: 252
; Occupancy: 2
; WaveLimiterHint : 1
; COMPUTE_PGM_RSRC2:SCRATCH_EN: 0
; COMPUTE_PGM_RSRC2:USER_SGPR: 2
; COMPUTE_PGM_RSRC2:TRAP_HANDLER: 0
; COMPUTE_PGM_RSRC2:TGID_X_EN: 1
; COMPUTE_PGM_RSRC2:TGID_Y_EN: 0
; COMPUTE_PGM_RSRC2:TGID_Z_EN: 0
; COMPUTE_PGM_RSRC2:TIDIG_COMP_CNT: 0
; COMPUTE_PGM_RSRC3_GFX90A:ACCUM_OFFSET: 62
; COMPUTE_PGM_RSRC3_GFX90A:TG_SPLIT: 0
	.text
	.p2alignl 6, 3212836864
	.fill 256, 4, 3212836864
	.type	__hip_cuid_bb8943c6a6bcff4e,@object ; @__hip_cuid_bb8943c6a6bcff4e
	.section	.bss,"aw",@nobits
	.globl	__hip_cuid_bb8943c6a6bcff4e
__hip_cuid_bb8943c6a6bcff4e:
	.byte	0                               ; 0x0
	.size	__hip_cuid_bb8943c6a6bcff4e, 1

	.ident	"AMD clang version 19.0.0git (https://github.com/RadeonOpenCompute/llvm-project roc-6.4.0 25133 c7fe45cf4b819c5991fe208aaa96edf142730f1d)"
	.section	".note.GNU-stack","",@progbits
	.addrsig
	.addrsig_sym __hip_cuid_bb8943c6a6bcff4e
	.amdgpu_metadata
---
amdhsa.kernels:
  - .agpr_count:     0
    .args:
      - .actual_access:  read_only
        .address_space:  global
        .offset:         0
        .size:           8
        .value_kind:     global_buffer
      - .offset:         8
        .size:           8
        .value_kind:     by_value
      - .actual_access:  read_only
        .address_space:  global
        .offset:         16
        .size:           8
        .value_kind:     global_buffer
      - .actual_access:  read_only
        .address_space:  global
        .offset:         24
        .size:           8
        .value_kind:     global_buffer
      - .offset:         32
        .size:           8
        .value_kind:     by_value
      - .actual_access:  read_only
        .address_space:  global
        .offset:         40
        .size:           8
        .value_kind:     global_buffer
      - .actual_access:  read_only
        .address_space:  global
        .offset:         48
        .size:           8
        .value_kind:     global_buffer
      - .offset:         56
        .size:           4
        .value_kind:     by_value
      - .actual_access:  read_only
        .address_space:  global
        .offset:         64
        .size:           8
        .value_kind:     global_buffer
      - .actual_access:  read_only
        .address_space:  global
        .offset:         72
        .size:           8
        .value_kind:     global_buffer
      - .address_space:  global
        .offset:         80
        .size:           8
        .value_kind:     global_buffer
    .group_segment_fixed_size: 0
    .kernarg_segment_align: 8
    .kernarg_segment_size: 88
    .language:       OpenCL C
    .language_version:
      - 2
      - 0
    .max_flat_workgroup_size: 117
    .name:           fft_rtc_back_len1170_factors_2_13_3_5_3_wgs_117_tpt_117_dp_ip_CI_unitstride_sbrr_dirReg
    .private_segment_fixed_size: 0
    .sgpr_count:     48
    .sgpr_spill_count: 0
    .symbol:         fft_rtc_back_len1170_factors_2_13_3_5_3_wgs_117_tpt_117_dp_ip_CI_unitstride_sbrr_dirReg.kd
    .uniform_work_group_size: 1
    .uses_dynamic_stack: false
    .vgpr_count:     250
    .vgpr_spill_count: 0
    .wavefront_size: 64
amdhsa.target:   amdgcn-amd-amdhsa--gfx950
amdhsa.version:
  - 1
  - 2
...

	.end_amdgpu_metadata
